;; amdgpu-corpus repo=ROCm/rocFFT kind=compiled arch=gfx906 opt=O3
	.text
	.amdgcn_target "amdgcn-amd-amdhsa--gfx906"
	.amdhsa_code_object_version 6
	.protected	bluestein_single_back_len750_dim1_dp_op_CI_CI ; -- Begin function bluestein_single_back_len750_dim1_dp_op_CI_CI
	.globl	bluestein_single_back_len750_dim1_dp_op_CI_CI
	.p2align	8
	.type	bluestein_single_back_len750_dim1_dp_op_CI_CI,@function
bluestein_single_back_len750_dim1_dp_op_CI_CI: ; @bluestein_single_back_len750_dim1_dp_op_CI_CI
; %bb.0:
	s_load_dwordx4 s[0:3], s[4:5], 0x28
	v_mul_u32_u24_e32 v1, 0x107, v0
	v_add_u32_sdwa v80, s6, v1 dst_sel:DWORD dst_unused:UNUSED_PAD src0_sel:DWORD src1_sel:WORD_1
	v_mov_b32_e32 v81, 0
	s_waitcnt lgkmcnt(0)
	v_cmp_gt_u64_e32 vcc, s[0:1], v[80:81]
	s_and_saveexec_b64 s[0:1], vcc
	s_cbranch_execz .LBB0_31
; %bb.1:
	s_load_dwordx2 s[14:15], s[4:5], 0x0
	s_load_dwordx2 s[12:13], s[4:5], 0x38
	s_movk_i32 s0, 0xfa
	v_mul_lo_u16_sdwa v1, v1, s0 dst_sel:DWORD dst_unused:UNUSED_PAD src0_sel:WORD_1 src1_sel:DWORD
	v_sub_u16_e32 v102, v0, v1
	s_movk_i32 s0, 0x4b
	v_cmp_gt_u16_e64 s[0:1], s0, v102
	v_lshlrev_b32_e32 v101, 4, v102
	s_and_saveexec_b64 s[6:7], s[0:1]
	s_cbranch_execz .LBB0_3
; %bb.2:
	s_load_dwordx2 s[8:9], s[4:5], 0x18
	s_waitcnt lgkmcnt(0)
	v_mov_b32_e32 v24, s15
	s_load_dwordx4 s[8:11], s[8:9], 0x0
	s_waitcnt lgkmcnt(0)
	v_mad_u64_u32 v[0:1], s[16:17], s10, v80, 0
	v_mad_u64_u32 v[2:3], s[16:17], s8, v102, 0
	;; [unrolled: 1-line block ×4, first 2 shown]
	v_mov_b32_e32 v1, v4
	v_lshlrev_b64 v[0:1], 4, v[0:1]
	v_mov_b32_e32 v3, v5
	v_mov_b32_e32 v6, s3
	v_lshlrev_b64 v[2:3], 4, v[2:3]
	v_add_co_u32_e32 v0, vcc, s2, v0
	v_addc_co_u32_e32 v1, vcc, v6, v1, vcc
	v_add_co_u32_e32 v16, vcc, v0, v2
	s_mul_i32 s2, s9, 0x4b0
	s_mul_hi_u32 s3, s8, 0x4b0
	v_addc_co_u32_e32 v17, vcc, v1, v3, vcc
	s_add_i32 s2, s3, s2
	s_mul_i32 s3, s8, 0x4b0
	v_mov_b32_e32 v0, s2
	v_add_co_u32_e32 v18, vcc, s3, v16
	v_addc_co_u32_e32 v19, vcc, v17, v0, vcc
	global_load_dwordx4 v[0:3], v101, s[14:15]
	global_load_dwordx4 v[4:7], v101, s[14:15] offset:1200
	global_load_dwordx4 v[8:11], v[16:17], off
	global_load_dwordx4 v[12:15], v[18:19], off
	v_mov_b32_e32 v16, s2
	v_add_co_u32_e32 v32, vcc, s3, v18
	v_addc_co_u32_e32 v33, vcc, v19, v16, vcc
	v_add_co_u32_e32 v60, vcc, s14, v101
	v_addc_co_u32_e32 v61, vcc, 0, v24, vcc
	v_mov_b32_e32 v24, s2
	v_add_co_u32_e32 v34, vcc, s3, v32
	s_movk_i32 s8, 0x1000
	v_addc_co_u32_e32 v35, vcc, v33, v24, vcc
	v_add_co_u32_e32 v52, vcc, s8, v60
	v_addc_co_u32_e32 v53, vcc, 0, v61, vcc
	global_load_dwordx4 v[16:19], v101, s[14:15] offset:2400
	global_load_dwordx4 v[20:23], v101, s[14:15] offset:3600
	global_load_dwordx4 v[24:27], v[32:33], off
	global_load_dwordx4 v[28:31], v[34:35], off
	v_mov_b32_e32 v32, s2
	v_add_co_u32_e32 v44, vcc, s3, v34
	v_addc_co_u32_e32 v45, vcc, v35, v32, vcc
	v_mov_b32_e32 v46, s2
	v_add_co_u32_e32 v54, vcc, s3, v44
	v_addc_co_u32_e32 v55, vcc, v45, v46, vcc
	global_load_dwordx4 v[32:35], v[44:45], off
	global_load_dwordx4 v[36:39], v[52:53], off offset:704
	global_load_dwordx4 v[40:43], v[52:53], off offset:1904
	s_nop 0
	global_load_dwordx4 v[44:47], v[54:55], off
	global_load_dwordx4 v[48:51], v[52:53], off offset:3104
	v_mov_b32_e32 v52, s2
	v_add_co_u32_e32 v56, vcc, s3, v54
	v_addc_co_u32_e32 v57, vcc, v55, v52, vcc
	v_mov_b32_e32 v58, s2
	v_add_co_u32_e32 v68, vcc, s3, v56
	s_movk_i32 s8, 0x2000
	v_addc_co_u32_e32 v69, vcc, v57, v58, vcc
	v_add_co_u32_e32 v81, vcc, s8, v60
	v_addc_co_u32_e32 v82, vcc, 0, v61, vcc
	v_mov_b32_e32 v70, s2
	v_add_co_u32_e32 v72, vcc, s3, v68
	v_addc_co_u32_e32 v73, vcc, v69, v70, vcc
	global_load_dwordx4 v[52:55], v[56:57], off
	v_mov_b32_e32 v74, s2
	v_add_co_u32_e32 v83, vcc, s3, v72
	global_load_dwordx4 v[56:59], v[68:69], off
	v_addc_co_u32_e32 v84, vcc, v73, v74, vcc
	global_load_dwordx4 v[60:63], v[81:82], off offset:208
	global_load_dwordx4 v[64:67], v[81:82], off offset:1408
	global_load_dwordx4 v[68:71], v[72:73], off
	s_nop 0
	global_load_dwordx4 v[72:75], v[83:84], off
	global_load_dwordx4 v[76:79], v[81:82], off offset:2608
	s_waitcnt vmcnt(17)
	v_mul_f64 v[81:82], v[10:11], v[2:3]
	v_mul_f64 v[2:3], v[8:9], v[2:3]
	s_waitcnt vmcnt(16)
	v_mul_f64 v[83:84], v[14:15], v[6:7]
	v_mul_f64 v[85:86], v[12:13], v[6:7]
	v_fma_f64 v[6:7], v[8:9], v[0:1], v[81:82]
	v_fma_f64 v[8:9], v[10:11], v[0:1], -v[2:3]
	v_fma_f64 v[0:1], v[12:13], v[4:5], v[83:84]
	v_fma_f64 v[2:3], v[14:15], v[4:5], -v[85:86]
	s_waitcnt vmcnt(13)
	v_mul_f64 v[4:5], v[26:27], v[18:19]
	s_waitcnt vmcnt(12)
	v_mul_f64 v[14:15], v[30:31], v[22:23]
	v_mul_f64 v[12:13], v[24:25], v[18:19]
	;; [unrolled: 1-line block ×3, first 2 shown]
	v_fma_f64 v[10:11], v[24:25], v[16:17], v[4:5]
	v_fma_f64 v[14:15], v[28:29], v[20:21], v[14:15]
	v_fma_f64 v[12:13], v[26:27], v[16:17], -v[12:13]
	s_waitcnt vmcnt(10)
	v_mul_f64 v[22:23], v[34:35], v[38:39]
	v_mul_f64 v[38:39], v[32:33], v[38:39]
	s_waitcnt vmcnt(8)
	v_mul_f64 v[81:82], v[46:47], v[42:43]
	v_mul_f64 v[42:43], v[44:45], v[42:43]
	v_fma_f64 v[16:17], v[30:31], v[20:21], -v[18:19]
	v_fma_f64 v[18:19], v[32:33], v[36:37], v[22:23]
	v_fma_f64 v[20:21], v[34:35], v[36:37], -v[38:39]
	v_fma_f64 v[22:23], v[44:45], v[40:41], v[81:82]
	v_fma_f64 v[24:25], v[46:47], v[40:41], -v[42:43]
	s_waitcnt vmcnt(6)
	v_mul_f64 v[4:5], v[54:55], v[50:51]
	v_mul_f64 v[28:29], v[52:53], v[50:51]
	s_waitcnt vmcnt(4)
	v_mul_f64 v[30:31], v[58:59], v[62:63]
	v_mul_f64 v[32:33], v[56:57], v[62:63]
	;; [unrolled: 3-line block ×4, first 2 shown]
	v_fma_f64 v[26:27], v[52:53], v[48:49], v[4:5]
	v_fma_f64 v[28:29], v[54:55], v[48:49], -v[28:29]
	v_fma_f64 v[30:31], v[56:57], v[60:61], v[30:31]
	v_fma_f64 v[32:33], v[58:59], v[60:61], -v[32:33]
	;; [unrolled: 2-line block ×4, first 2 shown]
	ds_write_b128 v101, v[6:9]
	ds_write_b128 v101, v[0:3] offset:1200
	ds_write_b128 v101, v[10:13] offset:2400
	;; [unrolled: 1-line block ×9, first 2 shown]
.LBB0_3:
	s_or_b64 exec, exec, s[6:7]
	s_waitcnt lgkmcnt(0)
	s_barrier
	s_waitcnt lgkmcnt(0)
                                        ; implicit-def: $vgpr24_vgpr25
                                        ; implicit-def: $vgpr0_vgpr1
                                        ; implicit-def: $vgpr20_vgpr21
                                        ; implicit-def: $vgpr4_vgpr5
                                        ; implicit-def: $vgpr28_vgpr29
                                        ; implicit-def: $vgpr8_vgpr9
                                        ; implicit-def: $vgpr32_vgpr33
                                        ; implicit-def: $vgpr12_vgpr13
                                        ; implicit-def: $vgpr36_vgpr37
                                        ; implicit-def: $vgpr16_vgpr17
	s_and_saveexec_b64 s[2:3], s[0:1]
	s_cbranch_execz .LBB0_5
; %bb.4:
	ds_read_b128 v[24:27], v101
	ds_read_b128 v[0:3], v101 offset:1200
	ds_read_b128 v[20:23], v101 offset:2400
	;; [unrolled: 1-line block ×9, first 2 shown]
.LBB0_5:
	s_or_b64 exec, exec, s[2:3]
	s_waitcnt lgkmcnt(3)
	v_add_f64 v[40:41], v[28:29], v[32:33]
	s_waitcnt lgkmcnt(1)
	v_add_f64 v[42:43], v[22:23], -v[38:39]
	s_mov_b32 s2, 0x134454ff
	s_mov_b32 s3, 0x3fee6f0e
	;; [unrolled: 1-line block ×4, first 2 shown]
	v_add_f64 v[44:45], v[30:31], -v[34:35]
	v_add_f64 v[46:47], v[20:21], -v[28:29]
	v_fma_f64 v[40:41], v[40:41], -0.5, v[24:25]
	v_add_f64 v[48:49], v[20:21], v[36:37]
	v_add_f64 v[50:51], v[36:37], -v[32:33]
	s_mov_b32 s10, 0x4755a5e
	s_mov_b32 s11, 0x3fe2cf23
	;; [unrolled: 1-line block ×4, first 2 shown]
	v_add_f64 v[54:55], v[30:31], v[34:35]
	v_fma_f64 v[52:53], v[42:43], s[2:3], v[40:41]
	v_fma_f64 v[40:41], v[42:43], s[6:7], v[40:41]
	v_add_f64 v[58:59], v[24:25], v[20:21]
	v_fma_f64 v[24:25], v[48:49], -0.5, v[24:25]
	v_add_f64 v[46:47], v[46:47], v[50:51]
	s_mov_b32 s16, 0x372fe950
	s_mov_b32 s17, 0x3fd3c6ef
	v_add_f64 v[56:57], v[22:23], v[38:39]
	v_fma_f64 v[48:49], v[44:45], s[10:11], v[52:53]
	v_fma_f64 v[40:41], v[44:45], s[8:9], v[40:41]
	v_add_f64 v[50:51], v[28:29], -v[20:21]
	v_add_f64 v[52:53], v[32:33], -v[36:37]
	v_fma_f64 v[54:55], v[54:55], -0.5, v[26:27]
	v_fma_f64 v[60:61], v[44:45], s[6:7], v[24:25]
	v_fma_f64 v[24:25], v[44:45], s[2:3], v[24:25]
	v_add_f64 v[44:45], v[26:27], v[22:23]
	v_add_f64 v[20:21], v[20:21], -v[36:37]
	v_fma_f64 v[62:63], v[46:47], s[16:17], v[40:41]
	v_add_f64 v[40:41], v[58:59], v[28:29]
	v_fma_f64 v[48:49], v[46:47], s[16:17], v[48:49]
	v_fma_f64 v[26:27], v[56:57], -0.5, v[26:27]
	v_fma_f64 v[46:47], v[42:43], s[10:11], v[60:61]
	v_add_f64 v[50:51], v[50:51], v[52:53]
	v_add_f64 v[52:53], v[22:23], -v[30:31]
	v_add_f64 v[56:57], v[38:39], -v[34:35]
	v_add_f64 v[44:45], v[44:45], v[30:31]
	v_add_f64 v[40:41], v[40:41], v[32:33]
	v_add_f64 v[28:29], v[28:29], -v[32:33]
	v_fma_f64 v[32:33], v[20:21], s[6:7], v[54:55]
	v_fma_f64 v[24:25], v[42:43], s[8:9], v[24:25]
	v_add_f64 v[42:43], v[8:9], v[12:13]
	v_fma_f64 v[54:55], v[20:21], s[2:3], v[54:55]
	v_add_f64 v[22:23], v[30:31], -v[22:23]
	v_add_f64 v[30:31], v[52:53], v[56:57]
	v_add_f64 v[52:53], v[40:41], v[36:37]
	;; [unrolled: 1-line block ×3, first 2 shown]
	v_fma_f64 v[32:33], v[28:29], s[8:9], v[32:33]
	s_waitcnt lgkmcnt(0)
	v_add_f64 v[44:45], v[6:7], -v[18:19]
	v_fma_f64 v[42:43], v[42:43], -0.5, v[0:1]
	v_fma_f64 v[40:41], v[28:29], s[10:11], v[54:55]
	v_fma_f64 v[54:55], v[50:51], s[16:17], v[46:47]
	v_fma_f64 v[50:51], v[50:51], s[16:17], v[24:25]
	v_add_f64 v[24:25], v[34:35], -v[38:39]
	v_add_f64 v[34:35], v[36:37], v[38:39]
	v_fma_f64 v[58:59], v[30:31], s[16:17], v[32:33]
	v_add_f64 v[32:33], v[4:5], v[16:17]
	v_fma_f64 v[36:37], v[28:29], s[2:3], v[26:27]
	v_fma_f64 v[26:27], v[28:29], s[6:7], v[26:27]
	;; [unrolled: 1-line block ×3, first 2 shown]
	v_add_f64 v[38:39], v[10:11], -v[14:15]
	v_add_f64 v[46:47], v[4:5], -v[8:9]
	;; [unrolled: 1-line block ×3, first 2 shown]
	v_fma_f64 v[42:43], v[44:45], s[6:7], v[42:43]
	v_fma_f64 v[32:33], v[32:33], -0.5, v[0:1]
	v_fma_f64 v[60:61], v[30:31], s[16:17], v[40:41]
	v_add_f64 v[22:23], v[22:23], v[24:25]
	v_fma_f64 v[24:25], v[20:21], s[8:9], v[36:37]
	v_fma_f64 v[20:21], v[20:21], s[10:11], v[26:27]
	;; [unrolled: 1-line block ×3, first 2 shown]
	v_add_f64 v[28:29], v[46:47], v[56:57]
	v_fma_f64 v[30:31], v[38:39], s[8:9], v[42:43]
	v_add_f64 v[42:43], v[6:7], v[18:19]
	v_fma_f64 v[36:37], v[38:39], s[6:7], v[32:33]
	v_fma_f64 v[32:33], v[38:39], s[2:3], v[32:33]
	v_add_f64 v[38:39], v[10:11], v[14:15]
	v_fma_f64 v[64:65], v[22:23], s[16:17], v[24:25]
	;; [unrolled: 3-line block ×3, first 2 shown]
	v_fma_f64 v[22:23], v[28:29], s[16:17], v[30:31]
	v_fma_f64 v[26:27], v[42:43], -0.5, v[2:3]
	v_add_f64 v[28:29], v[8:9], -v[12:13]
	v_add_f64 v[40:41], v[8:9], -v[4:5]
	;; [unrolled: 1-line block ×3, first 2 shown]
	v_fma_f64 v[24:25], v[38:39], -0.5, v[2:3]
	v_add_f64 v[4:5], v[4:5], -v[16:17]
	v_add_f64 v[2:3], v[2:3], v[6:7]
	v_add_f64 v[0:1], v[0:1], v[8:9]
	v_add_f64 v[8:9], v[6:7], -v[10:11]
	v_add_f64 v[6:7], v[10:11], -v[6:7]
	;; [unrolled: 1-line block ×3, first 2 shown]
	v_fma_f64 v[56:57], v[28:29], s[2:3], v[26:27]
	v_add_f64 v[30:31], v[18:19], -v[14:15]
	v_fma_f64 v[42:43], v[4:5], s[6:7], v[24:25]
	v_add_f64 v[40:41], v[40:41], v[46:47]
	v_fma_f64 v[32:33], v[44:45], s[8:9], v[32:33]
	v_add_f64 v[2:3], v[2:3], v[10:11]
	v_add_f64 v[0:1], v[0:1], v[12:13]
	;; [unrolled: 1-line block ×3, first 2 shown]
	v_fma_f64 v[12:13], v[4:5], s[8:9], v[56:57]
	v_fma_f64 v[24:25], v[4:5], s[2:3], v[24:25]
	;; [unrolled: 1-line block ×3, first 2 shown]
	v_add_f64 v[8:9], v[8:9], v[30:31]
	v_fma_f64 v[10:11], v[28:29], s[8:9], v[42:43]
	v_fma_f64 v[30:31], v[44:45], s[10:11], v[36:37]
	v_add_f64 v[0:1], v[0:1], v[16:17]
	v_fma_f64 v[16:17], v[40:41], s[16:17], v[32:33]
	v_add_f64 v[2:3], v[2:3], v[14:15]
	v_fma_f64 v[12:13], v[6:7], s[16:17], v[12:13]
	v_fma_f64 v[14:15], v[28:29], s[10:11], v[24:25]
	;; [unrolled: 1-line block ×3, first 2 shown]
	s_mov_b32 s18, 0x9b97f4a8
	s_mov_b32 s19, 0x3fe9e377
	v_fma_f64 v[10:11], v[8:9], s[16:17], v[10:11]
	v_mul_f64 v[26:27], v[20:21], s[18:19]
	v_fma_f64 v[28:29], v[40:41], s[16:17], v[30:31]
	v_add_f64 v[2:3], v[2:3], v[18:19]
	v_mul_f64 v[18:19], v[12:13], s[2:3]
	v_fma_f64 v[8:9], v[8:9], s[16:17], v[14:15]
	v_fma_f64 v[4:5], v[6:7], s[16:17], v[4:5]
	v_mul_f64 v[6:7], v[16:17], s[16:17]
	v_mul_f64 v[20:21], v[20:21], s[8:9]
	v_fma_f64 v[14:15], v[10:11], s[10:11], v[26:27]
	v_mul_f64 v[26:27], v[22:23], s[18:19]
	v_add_f64 v[24:25], v[52:53], v[0:1]
	v_fma_f64 v[32:33], v[28:29], s[16:17], v[18:19]
	v_mul_f64 v[18:19], v[28:29], s[6:7]
	v_mul_f64 v[30:31], v[4:5], s[16:17]
	v_fma_f64 v[4:5], v[4:5], s[2:3], -v[6:7]
	v_mul_f64 v[6:7], v[8:9], s[18:19]
	v_fma_f64 v[10:11], v[10:11], s[18:19], v[20:21]
	v_fma_f64 v[8:9], v[8:9], s[10:11], -v[26:27]
	v_add_f64 v[28:29], v[48:49], v[14:15]
	v_add_f64 v[36:37], v[54:55], v[32:33]
	v_fma_f64 v[12:13], v[12:13], s[16:17], v[18:19]
	v_fma_f64 v[68:69], v[16:17], s[6:7], -v[30:31]
	v_add_f64 v[40:41], v[50:51], v[4:5]
	v_fma_f64 v[6:7], v[22:23], s[8:9], -v[6:7]
	v_add_f64 v[26:27], v[34:35], v[2:3]
	v_add_f64 v[16:17], v[52:53], -v[0:1]
	v_add_f64 v[18:19], v[34:35], -v[2:3]
	v_add_f64 v[44:45], v[62:63], v[8:9]
	v_add_f64 v[30:31], v[58:59], v[10:11]
	;; [unrolled: 1-line block ×5, first 2 shown]
	v_add_f64 v[52:53], v[48:49], -v[14:15]
	v_add_f64 v[20:21], v[54:55], -v[32:33]
	;; [unrolled: 1-line block ×8, first 2 shown]
	s_load_dwordx2 s[8:9], s[4:5], 0x8
	v_mul_lo_u16_e32 v104, 10, v102
	s_waitcnt lgkmcnt(0)
	s_barrier
	s_and_saveexec_b64 s[2:3], s[0:1]
	s_cbranch_execz .LBB0_7
; %bb.6:
	v_lshlrev_b32_e32 v0, 4, v104
	ds_write_b128 v0, v[24:27]
	ds_write_b128 v0, v[28:31] offset:16
	ds_write_b128 v0, v[36:39] offset:32
	;; [unrolled: 1-line block ×9, first 2 shown]
.LBB0_7:
	s_or_b64 exec, exec, s[2:3]
	s_load_dwordx2 s[4:5], s[4:5], 0x20
	s_movk_i32 s2, 0x96
	v_cmp_gt_u16_e64 s[2:3], s2, v102
	s_waitcnt lgkmcnt(0)
	s_barrier
	s_and_saveexec_b64 s[6:7], s[2:3]
	s_cbranch_execz .LBB0_9
; %bb.8:
	ds_read_b128 v[24:27], v101
	ds_read_b128 v[28:31], v101 offset:2400
	ds_read_b128 v[36:39], v101 offset:4800
	;; [unrolled: 1-line block ×4, first 2 shown]
.LBB0_9:
	s_or_b64 exec, exec, s[6:7]
	s_movk_i32 s6, 0xcd
	v_mul_lo_u16_sdwa v0, v102, s6 dst_sel:DWORD dst_unused:UNUSED_PAD src0_sel:BYTE_0 src1_sel:DWORD
	v_lshrrev_b16_e32 v105, 11, v0
	v_mul_lo_u16_e32 v0, 10, v105
	v_sub_u16_e32 v0, v102, v0
	v_and_b32_e32 v103, 0xff, v0
	v_lshlrev_b32_e32 v48, 6, v103
	global_load_dwordx4 v[8:11], v48, s[8:9]
	global_load_dwordx4 v[4:7], v48, s[8:9] offset:16
	global_load_dwordx4 v[0:3], v48, s[8:9] offset:32
	;; [unrolled: 1-line block ×3, first 2 shown]
	s_mov_b32 s6, 0x134454ff
	s_mov_b32 s7, 0x3fee6f0e
	;; [unrolled: 1-line block ×8, first 2 shown]
	v_mul_u32_u24_e32 v105, 50, v105
	s_waitcnt vmcnt(0) lgkmcnt(0)
	s_barrier
	v_mul_f64 v[48:49], v[28:29], v[10:11]
	v_mul_f64 v[50:51], v[38:39], v[6:7]
	;; [unrolled: 1-line block ×8, first 2 shown]
	v_fma_f64 v[68:69], v[30:31], v[8:9], v[48:49]
	v_fma_f64 v[48:49], v[36:37], v[4:5], -v[50:51]
	v_fma_f64 v[36:37], v[40:41], v[0:1], -v[60:61]
	v_fma_f64 v[30:31], v[46:47], v[12:13], v[62:63]
	v_fma_f64 v[46:47], v[28:29], v[8:9], -v[64:65]
	v_fma_f64 v[28:29], v[44:45], v[12:13], -v[66:67]
	v_fma_f64 v[40:41], v[38:39], v[4:5], v[70:71]
	v_fma_f64 v[38:39], v[42:43], v[0:1], v[72:73]
	v_add_f64 v[44:45], v[48:49], v[36:37]
	v_add_f64 v[76:77], v[68:69], v[30:31]
	v_add_f64 v[42:43], v[68:69], -v[30:31]
	v_add_f64 v[66:67], v[46:47], v[28:29]
	v_add_f64 v[70:71], v[46:47], -v[28:29]
	;; [unrolled: 2-line block ×3, first 2 shown]
	v_add_f64 v[74:75], v[48:49], -v[36:37]
	v_fma_f64 v[44:45], v[44:45], -0.5, v[24:25]
	v_fma_f64 v[76:77], v[76:77], -0.5, v[26:27]
	v_add_f64 v[60:61], v[46:47], -v[48:49]
	v_add_f64 v[62:63], v[28:29], -v[36:37]
	;; [unrolled: 1-line block ×3, first 2 shown]
	v_fma_f64 v[72:73], v[50:51], -0.5, v[26:27]
	v_fma_f64 v[50:51], v[66:67], -0.5, v[24:25]
	v_add_f64 v[78:79], v[36:37], -v[28:29]
	v_add_f64 v[66:67], v[68:69], -v[40:41]
	;; [unrolled: 1-line block ×5, first 2 shown]
	v_fma_f64 v[93:94], v[42:43], s[10:11], v[44:45]
	v_fma_f64 v[95:96], v[70:71], s[6:7], v[72:73]
	;; [unrolled: 1-line block ×4, first 2 shown]
	v_add_f64 v[87:88], v[60:61], v[62:63]
	v_add_f64 v[83:84], v[64:65], v[78:79]
	;; [unrolled: 1-line block ×4, first 2 shown]
	v_fma_f64 v[60:61], v[85:86], s[18:19], v[93:94]
	v_fma_f64 v[62:63], v[74:75], s[16:17], v[95:96]
	;; [unrolled: 1-line block ×4, first 2 shown]
	s_mov_b32 s18, 0x372fe950
	s_mov_b32 s19, 0x3fd3c6ef
	v_fma_f64 v[64:65], v[87:88], s[18:19], v[60:61]
	v_fma_f64 v[66:67], v[78:79], s[18:19], v[62:63]
	;; [unrolled: 1-line block ×4, first 2 shown]
	s_and_saveexec_b64 s[10:11], s[2:3]
	s_cbranch_execz .LBB0_11
; %bb.10:
	v_mul_f64 v[95:96], v[70:71], s[6:7]
	v_add_f64 v[26:27], v[26:27], v[68:69]
	v_add_f64 v[24:25], v[24:25], v[46:47]
	v_mul_f64 v[89:90], v[42:43], s[6:7]
	v_mul_f64 v[91:92], v[85:86], s[16:17]
	;; [unrolled: 1-line block ×5, first 2 shown]
	v_add_f64 v[72:73], v[72:73], -v[95:96]
	v_add_f64 v[26:27], v[26:27], v[40:41]
	v_add_f64 v[24:25], v[24:25], v[48:49]
	;; [unrolled: 1-line block ×3, first 2 shown]
	v_mul_f64 v[42:43], v[42:43], s[16:17]
	v_mul_f64 v[70:71], v[70:71], s[16:17]
	v_add_f64 v[74:75], v[93:94], v[76:77]
	v_add_f64 v[44:45], v[50:51], -v[85:86]
	v_add_f64 v[68:69], v[72:73], -v[68:69]
	v_add_f64 v[72:73], v[26:27], v[38:39]
	v_add_f64 v[24:25], v[24:25], v[36:37]
	v_mul_f64 v[87:88], v[87:88], s[18:19]
	v_mul_f64 v[48:49], v[78:79], s[18:19]
	v_add_f64 v[36:37], v[91:92], v[40:41]
	v_mul_f64 v[46:47], v[83:84], s[18:19]
	v_mul_f64 v[50:51], v[81:82], s[18:19]
	v_add_f64 v[70:71], v[74:75], -v[70:71]
	v_add_f64 v[40:41], v[42:43], v[44:45]
	v_add_f64 v[30:31], v[72:73], v[30:31]
	;; [unrolled: 1-line block ×7, first 2 shown]
	v_add_lshl_u32 v40, v105, v103, 4
	ds_write_b128 v40, v[28:31]
	ds_write_b128 v40, v[36:39] offset:160
	ds_write_b128 v40, v[24:27] offset:320
	;; [unrolled: 1-line block ×4, first 2 shown]
.LBB0_11:
	s_or_b64 exec, exec, s[10:11]
	v_mov_b32_e32 v24, 41
	v_mul_lo_u16_sdwa v24, v102, v24 dst_sel:DWORD dst_unused:UNUSED_PAD src0_sel:BYTE_0 src1_sel:DWORD
	v_lshrrev_b16_e32 v81, 11, v24
	v_mul_lo_u16_e32 v24, 50, v81
	v_sub_u16_e32 v24, v102, v24
	v_and_b32_e32 v82, 0xff, v24
	v_lshlrev_b32_e32 v36, 5, v82
	s_load_dwordx4 s[4:7], s[4:5], 0x0
	s_waitcnt lgkmcnt(0)
	s_barrier
	global_load_dwordx4 v[28:31], v36, s[8:9] offset:640
	global_load_dwordx4 v[24:27], v36, s[8:9] offset:656
	ds_read_b128 v[36:39], v101 offset:4000
	ds_read_b128 v[40:43], v101 offset:8000
	s_mov_b32 s10, 0xe8584caa
	s_mov_b32 s11, 0x3febb67a
	;; [unrolled: 1-line block ×4, first 2 shown]
	s_waitcnt vmcnt(1) lgkmcnt(1)
	v_mul_f64 v[44:45], v[38:39], v[30:31]
	v_mul_f64 v[46:47], v[36:37], v[30:31]
	s_waitcnt vmcnt(0) lgkmcnt(0)
	v_mul_f64 v[48:49], v[42:43], v[26:27]
	v_mul_f64 v[50:51], v[40:41], v[26:27]
	v_fma_f64 v[44:45], v[36:37], v[28:29], -v[44:45]
	v_fma_f64 v[46:47], v[38:39], v[28:29], v[46:47]
	v_fma_f64 v[40:41], v[40:41], v[24:25], -v[48:49]
	v_fma_f64 v[42:43], v[42:43], v[24:25], v[50:51]
	ds_read_b128 v[36:39], v101
	s_waitcnt lgkmcnt(0)
	s_barrier
	v_add_f64 v[68:69], v[36:37], v[44:45]
	v_add_f64 v[48:49], v[44:45], v[40:41]
	;; [unrolled: 1-line block ×3, first 2 shown]
	v_add_f64 v[74:75], v[46:47], -v[42:43]
	v_add_f64 v[46:47], v[38:39], v[46:47]
	v_add_f64 v[44:45], v[44:45], -v[40:41]
	v_add_f64 v[68:69], v[68:69], v[40:41]
	v_fma_f64 v[36:37], v[48:49], -0.5, v[36:37]
	v_fma_f64 v[38:39], v[50:51], -0.5, v[38:39]
	v_add_f64 v[70:71], v[46:47], v[42:43]
	v_fma_f64 v[72:73], v[74:75], s[10:11], v[36:37]
	v_fma_f64 v[76:77], v[74:75], s[16:17], v[36:37]
	;; [unrolled: 1-line block ×4, first 2 shown]
	v_mul_u32_u24_e32 v36, 0x96, v81
	v_add_lshl_u32 v106, v36, v82, 4
	ds_write_b128 v106, v[68:71]
	ds_write_b128 v106, v[72:75] offset:800
	ds_write_b128 v106, v[76:79] offset:1600
	s_waitcnt lgkmcnt(0)
	s_barrier
	s_and_saveexec_b64 s[10:11], s[2:3]
	s_cbranch_execz .LBB0_13
; %bb.12:
	ds_read_b128 v[68:71], v101
	ds_read_b128 v[72:75], v101 offset:2400
	ds_read_b128 v[76:79], v101 offset:4800
	;; [unrolled: 1-line block ×4, first 2 shown]
.LBB0_13:
	s_or_b64 exec, exec, s[10:11]
	v_lshlrev_b32_e32 v36, 2, v102
	v_add_co_u32_e32 v38, vcc, 0xfffffda8, v36
	v_addc_co_u32_e64 v37, s[10:11], 0, -1, vcc
	v_cndmask_b32_e64 v37, v37, 0, s[2:3]
	v_cndmask_b32_e64 v36, v38, v36, s[2:3]
	v_lshlrev_b64 v[36:37], 4, v[36:37]
	v_mov_b32_e32 v38, s9
	v_add_co_u32_e32 v81, vcc, s8, v36
	v_addc_co_u32_e32 v82, vcc, v38, v37, vcc
	global_load_dwordx4 v[36:39], v[81:82], off offset:2240
	global_load_dwordx4 v[48:51], v[81:82], off offset:2256
	;; [unrolled: 1-line block ×4, first 2 shown]
	s_mov_b32 s16, 0x134454ff
	s_mov_b32 s17, 0x3fee6f0e
	;; [unrolled: 1-line block ×10, first 2 shown]
	s_waitcnt vmcnt(3) lgkmcnt(3)
	v_mul_f64 v[81:82], v[74:75], v[38:39]
	v_mul_f64 v[83:84], v[72:73], v[38:39]
	s_waitcnt vmcnt(2) lgkmcnt(2)
	v_mul_f64 v[85:86], v[78:79], v[50:51]
	v_mul_f64 v[87:88], v[76:77], v[50:51]
	s_waitcnt vmcnt(1) lgkmcnt(1)
	v_mul_f64 v[89:90], v[62:63], v[46:47]
	s_waitcnt vmcnt(0) lgkmcnt(0)
	v_mul_f64 v[91:92], v[64:65], v[42:43]
	v_mul_f64 v[93:94], v[60:61], v[46:47]
	;; [unrolled: 1-line block ×3, first 2 shown]
	v_fma_f64 v[72:73], v[72:73], v[36:37], -v[81:82]
	v_fma_f64 v[74:75], v[74:75], v[36:37], v[83:84]
	v_fma_f64 v[76:77], v[76:77], v[48:49], -v[85:86]
	v_fma_f64 v[78:79], v[78:79], v[48:49], v[87:88]
	;; [unrolled: 2-line block ×3, first 2 shown]
	v_fma_f64 v[62:63], v[62:63], v[44:45], v[93:94]
	v_fma_f64 v[64:65], v[64:65], v[40:41], -v[95:96]
	v_add_f64 v[81:82], v[68:69], v[72:73]
	v_add_f64 v[99:100], v[70:71], v[74:75]
	v_add_f64 v[89:90], v[72:73], -v[76:77]
	v_add_f64 v[95:96], v[76:77], -v[72:73]
	v_add_f64 v[83:84], v[76:77], v[60:61]
	v_add_f64 v[115:116], v[74:75], v[66:67]
	;; [unrolled: 1-line block ×3, first 2 shown]
	v_add_f64 v[91:92], v[64:65], -v[60:61]
	v_add_f64 v[93:94], v[72:73], v[64:65]
	v_add_f64 v[85:86], v[74:75], -v[66:67]
	v_add_f64 v[87:88], v[78:79], -v[62:63]
	;; [unrolled: 1-line block ×8, first 2 shown]
	v_add_f64 v[76:77], v[81:82], v[76:77]
	v_fma_f64 v[81:82], v[83:84], -0.5, v[68:69]
	v_add_f64 v[83:84], v[89:90], v[91:92]
	v_fma_f64 v[68:69], v[93:94], -0.5, v[68:69]
	;; [unrolled: 2-line block ×3, first 2 shown]
	v_fma_f64 v[70:71], v[115:116], -0.5, v[70:71]
	v_add_f64 v[113:114], v[66:67], -v[62:63]
	v_add_f64 v[89:90], v[95:96], v[97:98]
	v_add_f64 v[95:96], v[74:75], v[117:118]
	;; [unrolled: 1-line block ×3, first 2 shown]
	v_fma_f64 v[74:75], v[85:86], s[16:17], v[81:82]
	v_fma_f64 v[76:77], v[85:86], s[18:19], v[81:82]
	;; [unrolled: 1-line block ×4, first 2 shown]
	v_add_f64 v[62:63], v[78:79], v[62:63]
	v_fma_f64 v[78:79], v[72:73], s[18:19], v[91:92]
	v_fma_f64 v[91:92], v[72:73], s[16:17], v[91:92]
	;; [unrolled: 1-line block ×4, first 2 shown]
	v_add_f64 v[93:94], v[111:112], v[113:114]
	v_add_f64 v[68:69], v[60:61], v[64:65]
	v_fma_f64 v[60:61], v[87:88], s[8:9], v[74:75]
	v_fma_f64 v[64:65], v[87:88], s[20:21], v[76:77]
	;; [unrolled: 1-line block ×4, first 2 shown]
	v_add_f64 v[70:71], v[62:63], v[66:67]
	v_fma_f64 v[62:63], v[109:110], s[20:21], v[78:79]
	v_fma_f64 v[66:67], v[109:110], s[8:9], v[91:92]
	;; [unrolled: 1-line block ×12, first 2 shown]
	s_and_saveexec_b64 s[8:9], s[2:3]
	s_cbranch_execz .LBB0_15
; %bb.14:
	ds_write_b128 v101, v[68:71]
	ds_write_b128 v101, v[60:63] offset:2400
	ds_write_b128 v101, v[72:75] offset:4800
	;; [unrolled: 1-line block ×4, first 2 shown]
.LBB0_15:
	s_or_b64 exec, exec, s[8:9]
	s_waitcnt lgkmcnt(0)
	s_barrier
	s_and_saveexec_b64 s[8:9], s[0:1]
	s_cbranch_execz .LBB0_17
; %bb.16:
	v_add_co_u32_e32 v95, vcc, s14, v101
	v_mov_b32_e32 v81, s15
	v_addc_co_u32_e32 v96, vcc, 0, v81, vcc
	v_add_co_u32_e32 v93, vcc, 0x2ee0, v95
	v_addc_co_u32_e32 v94, vcc, 0, v96, vcc
	v_add_co_u32_e32 v85, vcc, 0x2000, v95
	v_addc_co_u32_e32 v86, vcc, 0, v96, vcc
	global_load_dwordx4 v[85:88], v[85:86], off offset:3808
	ds_read_b128 v[81:84], v101
	s_movk_i32 s10, 0x4000
	s_waitcnt vmcnt(0) lgkmcnt(0)
	v_mul_f64 v[89:90], v[83:84], v[87:88]
	v_fma_f64 v[89:90], v[81:82], v[85:86], -v[89:90]
	v_mul_f64 v[81:82], v[81:82], v[87:88]
	v_fma_f64 v[91:92], v[83:84], v[85:86], v[81:82]
	global_load_dwordx4 v[85:88], v[93:94], off offset:1200
	ds_read_b128 v[81:84], v101 offset:1200
	ds_write_b128 v101, v[89:92]
	s_waitcnt vmcnt(0) lgkmcnt(1)
	v_mul_f64 v[89:90], v[83:84], v[87:88]
	v_fma_f64 v[89:90], v[81:82], v[85:86], -v[89:90]
	v_mul_f64 v[81:82], v[81:82], v[87:88]
	v_fma_f64 v[91:92], v[83:84], v[85:86], v[81:82]
	global_load_dwordx4 v[85:88], v[93:94], off offset:2400
	ds_read_b128 v[81:84], v101 offset:2400
	ds_write_b128 v101, v[89:92] offset:1200
	s_waitcnt vmcnt(0) lgkmcnt(1)
	v_mul_f64 v[89:90], v[83:84], v[87:88]
	v_fma_f64 v[89:90], v[81:82], v[85:86], -v[89:90]
	v_mul_f64 v[81:82], v[81:82], v[87:88]
	v_fma_f64 v[91:92], v[83:84], v[85:86], v[81:82]
	global_load_dwordx4 v[85:88], v[93:94], off offset:3600
	ds_read_b128 v[81:84], v101 offset:3600
	v_add_co_u32_e32 v93, vcc, s10, v95
	v_addc_co_u32_e32 v94, vcc, 0, v96, vcc
	s_movk_i32 s10, 0x5000
	ds_write_b128 v101, v[89:92] offset:2400
	s_waitcnt vmcnt(0) lgkmcnt(1)
	v_mul_f64 v[89:90], v[83:84], v[87:88]
	v_fma_f64 v[89:90], v[81:82], v[85:86], -v[89:90]
	v_mul_f64 v[81:82], v[81:82], v[87:88]
	v_fma_f64 v[91:92], v[83:84], v[85:86], v[81:82]
	global_load_dwordx4 v[85:88], v[93:94], off offset:416
	ds_read_b128 v[81:84], v101 offset:4800
	ds_write_b128 v101, v[89:92] offset:3600
	s_waitcnt vmcnt(0) lgkmcnt(1)
	v_mul_f64 v[89:90], v[83:84], v[87:88]
	v_fma_f64 v[89:90], v[81:82], v[85:86], -v[89:90]
	v_mul_f64 v[81:82], v[81:82], v[87:88]
	v_fma_f64 v[91:92], v[83:84], v[85:86], v[81:82]
	global_load_dwordx4 v[85:88], v[93:94], off offset:1616
	ds_read_b128 v[81:84], v101 offset:6000
	;; [unrolled: 8-line block ×4, first 2 shown]
	v_add_co_u32_e32 v93, vcc, s10, v95
	v_addc_co_u32_e32 v94, vcc, 0, v96, vcc
	ds_write_b128 v101, v[89:92] offset:7200
	s_waitcnt vmcnt(0) lgkmcnt(1)
	v_mul_f64 v[89:90], v[83:84], v[87:88]
	v_fma_f64 v[89:90], v[81:82], v[85:86], -v[89:90]
	v_mul_f64 v[81:82], v[81:82], v[87:88]
	v_fma_f64 v[91:92], v[83:84], v[85:86], v[81:82]
	global_load_dwordx4 v[85:88], v[93:94], off offset:1120
	ds_read_b128 v[81:84], v101 offset:9600
	ds_write_b128 v101, v[89:92] offset:8400
	s_waitcnt vmcnt(0) lgkmcnt(1)
	v_mul_f64 v[89:90], v[83:84], v[87:88]
	v_fma_f64 v[89:90], v[81:82], v[85:86], -v[89:90]
	v_mul_f64 v[81:82], v[81:82], v[87:88]
	v_fma_f64 v[91:92], v[83:84], v[85:86], v[81:82]
	global_load_dwordx4 v[85:88], v[93:94], off offset:2320
	ds_read_b128 v[81:84], v101 offset:10800
	ds_write_b128 v101, v[89:92] offset:9600
	s_waitcnt vmcnt(0) lgkmcnt(1)
	v_mul_f64 v[89:90], v[83:84], v[87:88]
	v_fma_f64 v[89:90], v[81:82], v[85:86], -v[89:90]
	v_mul_f64 v[81:82], v[81:82], v[87:88]
	v_fma_f64 v[91:92], v[83:84], v[85:86], v[81:82]
	ds_write_b128 v101, v[89:92] offset:10800
.LBB0_17:
	s_or_b64 exec, exec, s[8:9]
	s_waitcnt lgkmcnt(0)
	s_barrier
	s_and_saveexec_b64 s[8:9], s[0:1]
	s_cbranch_execz .LBB0_19
; %bb.18:
	ds_read_b128 v[68:71], v101
	ds_read_b128 v[60:63], v101 offset:1200
	ds_read_b128 v[72:75], v101 offset:2400
	;; [unrolled: 1-line block ×9, first 2 shown]
.LBB0_19:
	s_or_b64 exec, exec, s[8:9]
	s_waitcnt lgkmcnt(7)
	v_add_f64 v[81:82], v[68:69], v[72:73]
	s_waitcnt lgkmcnt(3)
	v_add_f64 v[83:84], v[76:77], v[52:53]
	s_waitcnt lgkmcnt(1)
	v_add_f64 v[85:86], v[74:75], -v[58:59]
	v_add_f64 v[89:90], v[72:73], v[56:57]
	s_mov_b32 s8, 0x134454ff
	s_mov_b32 s9, 0xbfee6f0e
	;; [unrolled: 1-line block ×4, first 2 shown]
	v_add_f64 v[81:82], v[81:82], v[76:77]
	v_fma_f64 v[83:84], v[83:84], -0.5, v[68:69]
	v_add_f64 v[87:88], v[78:79], -v[54:55]
	v_add_f64 v[91:92], v[72:73], -v[76:77]
	;; [unrolled: 1-line block ×3, first 2 shown]
	v_fma_f64 v[89:90], v[89:90], -0.5, v[68:69]
	v_add_f64 v[97:98], v[78:79], v[54:55]
	s_mov_b32 s10, 0x4755a5e
	v_add_f64 v[81:82], v[81:82], v[52:53]
	v_fma_f64 v[95:96], v[85:86], s[8:9], v[83:84]
	v_fma_f64 v[83:84], v[85:86], s[16:17], v[83:84]
	s_mov_b32 s11, 0xbfe2cf23
	s_mov_b32 s19, 0x3fe2cf23
	;; [unrolled: 1-line block ×3, first 2 shown]
	v_add_f64 v[91:92], v[91:92], v[93:94]
	v_fma_f64 v[93:94], v[87:88], s[16:17], v[89:90]
	v_add_f64 v[68:69], v[81:82], v[56:57]
	v_fma_f64 v[81:82], v[87:88], s[10:11], v[95:96]
	v_fma_f64 v[83:84], v[87:88], s[18:19], v[83:84]
	v_add_f64 v[95:96], v[76:77], -v[72:73]
	v_add_f64 v[99:100], v[52:53], -v[56:57]
	v_add_f64 v[107:108], v[70:71], v[74:75]
	v_fma_f64 v[97:98], v[97:98], -0.5, v[70:71]
	v_add_f64 v[56:57], v[72:73], -v[56:57]
	s_mov_b32 s20, 0x372fe950
	s_mov_b32 s21, 0x3fd3c6ef
	v_fma_f64 v[72:73], v[91:92], s[20:21], v[81:82]
	v_fma_f64 v[81:82], v[91:92], s[20:21], v[83:84]
	;; [unrolled: 1-line block ×3, first 2 shown]
	v_add_f64 v[91:92], v[95:96], v[99:100]
	v_fma_f64 v[87:88], v[87:88], s[8:9], v[89:90]
	v_add_f64 v[89:90], v[107:108], v[78:79]
	v_fma_f64 v[93:94], v[56:57], s[16:17], v[97:98]
	v_add_f64 v[52:53], v[76:77], -v[52:53]
	v_add_f64 v[95:96], v[74:75], -v[78:79]
	;; [unrolled: 1-line block ×3, first 2 shown]
	v_add_f64 v[107:108], v[74:75], v[58:59]
	v_fma_f64 v[97:98], v[56:57], s[8:9], v[97:98]
	v_fma_f64 v[85:86], v[85:86], s[18:19], v[87:88]
	v_add_f64 v[87:88], v[89:90], v[54:55]
	v_add_f64 v[89:90], v[16:17], v[20:21]
	v_fma_f64 v[93:94], v[52:53], s[18:19], v[93:94]
	v_fma_f64 v[76:77], v[91:92], s[20:21], v[83:84]
	v_add_f64 v[95:96], v[95:96], v[99:100]
	v_fma_f64 v[99:100], v[107:108], -0.5, v[70:71]
	v_fma_f64 v[97:98], v[52:53], s[10:11], v[97:98]
	v_fma_f64 v[70:71], v[91:92], s[20:21], v[85:86]
	v_add_f64 v[91:92], v[60:61], v[64:65]
	v_fma_f64 v[89:90], v[89:90], -0.5, v[60:61]
	s_waitcnt lgkmcnt(0)
	v_add_f64 v[107:108], v[66:67], -v[34:35]
	v_add_f64 v[74:75], v[78:79], -v[74:75]
	v_fma_f64 v[85:86], v[95:96], s[20:21], v[93:94]
	v_fma_f64 v[93:94], v[52:53], s[8:9], v[99:100]
	v_add_f64 v[54:55], v[54:55], -v[58:59]
	v_fma_f64 v[52:53], v[52:53], s[16:17], v[99:100]
	v_add_f64 v[83:84], v[87:88], v[58:59]
	v_fma_f64 v[87:88], v[95:96], s[20:21], v[97:98]
	v_add_f64 v[58:59], v[91:92], v[16:17]
	v_fma_f64 v[78:79], v[107:108], s[8:9], v[89:90]
	v_add_f64 v[91:92], v[18:19], -v[22:23]
	v_add_f64 v[95:96], v[64:65], -v[16:17]
	;; [unrolled: 1-line block ×3, first 2 shown]
	v_add_f64 v[99:100], v[64:65], v[32:33]
	v_add_f64 v[109:110], v[18:19], v[22:23]
	;; [unrolled: 1-line block ×3, first 2 shown]
	v_fma_f64 v[52:53], v[56:57], s[10:11], v[52:53]
	v_fma_f64 v[93:94], v[56:57], s[18:19], v[93:94]
	v_add_f64 v[56:57], v[58:59], v[20:21]
	v_fma_f64 v[58:59], v[91:92], s[10:11], v[78:79]
	v_add_f64 v[95:96], v[95:96], v[97:98]
	v_fma_f64 v[97:98], v[99:100], -0.5, v[60:61]
	v_fma_f64 v[89:90], v[107:108], s[16:17], v[89:90]
	v_fma_f64 v[99:100], v[109:110], -0.5, v[62:63]
	v_add_f64 v[109:110], v[64:65], -v[32:33]
	v_fma_f64 v[78:79], v[54:55], s[20:21], v[52:53]
	v_add_f64 v[52:53], v[66:67], v[34:35]
	v_fma_f64 v[74:75], v[54:55], s[20:21], v[93:94]
	v_add_f64 v[60:61], v[56:57], v[32:33]
	v_fma_f64 v[56:57], v[95:96], s[20:21], v[58:59]
	v_fma_f64 v[58:59], v[91:92], s[18:19], v[89:90]
	v_add_f64 v[93:94], v[16:17], -v[20:21]
	v_fma_f64 v[89:90], v[109:110], s[16:17], v[99:100]
	v_add_f64 v[111:112], v[66:67], -v[18:19]
	v_add_f64 v[113:114], v[34:35], -v[22:23]
	v_fma_f64 v[52:53], v[52:53], -0.5, v[62:63]
	v_add_f64 v[20:21], v[20:21], -v[32:33]
	v_add_f64 v[32:33], v[62:63], v[66:67]
	v_fma_f64 v[54:55], v[91:92], s[16:17], v[97:98]
	v_add_f64 v[16:17], v[16:17], -v[64:65]
	v_fma_f64 v[62:63], v[91:92], s[8:9], v[97:98]
	v_fma_f64 v[64:65], v[93:94], s[18:19], v[89:90]
	v_add_f64 v[89:90], v[111:112], v[113:114]
	v_fma_f64 v[91:92], v[93:94], s[8:9], v[52:53]
	v_add_f64 v[66:67], v[18:19], -v[66:67]
	v_add_f64 v[97:98], v[22:23], -v[34:35]
	v_fma_f64 v[52:53], v[93:94], s[16:17], v[52:53]
	v_add_f64 v[18:19], v[32:33], v[18:19]
	v_fma_f64 v[32:33], v[109:110], s[8:9], v[99:100]
	v_add_f64 v[16:17], v[16:17], v[20:21]
	v_fma_f64 v[20:21], v[107:108], s[18:19], v[62:63]
	v_fma_f64 v[99:100], v[89:90], s[20:21], v[64:65]
	;; [unrolled: 1-line block ×3, first 2 shown]
	v_add_f64 v[64:65], v[66:67], v[97:98]
	v_fma_f64 v[52:53], v[109:110], s[10:11], v[52:53]
	v_add_f64 v[18:19], v[18:19], v[22:23]
	v_fma_f64 v[22:23], v[93:94], s[10:11], v[32:33]
	v_fma_f64 v[32:33], v[95:96], s[20:21], v[58:59]
	;; [unrolled: 1-line block ×3, first 2 shown]
	v_mul_f64 v[20:21], v[99:100], s[10:11]
	v_fma_f64 v[54:55], v[107:108], s[10:11], v[54:55]
	v_fma_f64 v[66:67], v[64:65], s[20:21], v[62:63]
	;; [unrolled: 1-line block ×3, first 2 shown]
	v_add_f64 v[64:65], v[18:19], v[34:35]
	v_fma_f64 v[18:19], v[89:90], s[20:21], v[22:23]
	s_mov_b32 s22, 0x9b97f4a8
	s_mov_b32 s23, 0x3fe9e377
	v_fma_f64 v[62:63], v[56:57], s[22:23], v[20:21]
	v_fma_f64 v[54:55], v[16:17], s[20:21], v[54:55]
	v_mul_f64 v[20:21], v[66:67], s[8:9]
	v_mul_f64 v[22:23], v[52:53], s[8:9]
	s_mov_b32 s9, 0xbfd3c6ef
	s_mov_b32 s8, s20
	v_mul_f64 v[34:35], v[18:19], s[10:11]
	s_mov_b32 s11, 0xbfe9e377
	s_mov_b32 s10, s22
	v_mul_f64 v[56:57], v[56:57], s[18:19]
	v_mul_f64 v[95:96], v[66:67], s[20:21]
	;; [unrolled: 1-line block ×4, first 2 shown]
	v_fma_f64 v[66:67], v[54:55], s[20:21], v[20:21]
	v_fma_f64 v[89:90], v[58:59], s[8:9], v[22:23]
	;; [unrolled: 1-line block ×3, first 2 shown]
	v_add_f64 v[16:17], v[68:69], v[60:61]
	v_fma_f64 v[93:94], v[99:100], s[22:23], v[56:57]
	v_fma_f64 v[95:96], v[54:55], s[16:17], v[95:96]
	;; [unrolled: 1-line block ×4, first 2 shown]
	v_add_f64 v[20:21], v[72:73], v[62:63]
	v_add_f64 v[32:33], v[76:77], v[66:67]
	;; [unrolled: 1-line block ×9, first 2 shown]
	s_barrier
	s_and_saveexec_b64 s[8:9], s[0:1]
	s_cbranch_execz .LBB0_21
; %bb.20:
	v_add_f64 v[97:98], v[78:79], -v[97:98]
	v_add_f64 v[78:79], v[74:75], -v[95:96]
	;; [unrolled: 1-line block ×8, first 2 shown]
	v_lshlrev_b32_e32 v60, 4, v104
	v_add_f64 v[87:88], v[87:88], -v[99:100]
	v_add_f64 v[95:96], v[70:71], -v[89:90]
	ds_write_b128 v60, v[16:19]
	ds_write_b128 v60, v[20:23] offset:16
	ds_write_b128 v60, v[32:35] offset:32
	;; [unrolled: 1-line block ×9, first 2 shown]
.LBB0_21:
	s_or_b64 exec, exec, s[8:9]
	s_waitcnt lgkmcnt(0)
	s_barrier
	s_and_saveexec_b64 s[8:9], s[2:3]
	s_cbranch_execz .LBB0_23
; %bb.22:
	ds_read_b128 v[16:19], v101
	ds_read_b128 v[20:23], v101 offset:2400
	ds_read_b128 v[32:35], v101 offset:4800
	;; [unrolled: 1-line block ×4, first 2 shown]
.LBB0_23:
	s_or_b64 exec, exec, s[8:9]
	s_waitcnt lgkmcnt(2)
	v_mul_f64 v[60:61], v[6:7], v[34:35]
	s_waitcnt lgkmcnt(1)
	v_mul_f64 v[62:63], v[2:3], v[54:55]
	v_mul_f64 v[64:65], v[10:11], v[22:23]
	;; [unrolled: 1-line block ×3, first 2 shown]
	s_waitcnt lgkmcnt(0)
	v_mul_f64 v[66:67], v[14:15], v[56:57]
	v_mul_f64 v[68:69], v[14:15], v[58:59]
	;; [unrolled: 1-line block ×4, first 2 shown]
	v_fma_f64 v[60:61], v[4:5], v[32:33], v[60:61]
	v_fma_f64 v[14:15], v[0:1], v[52:53], v[62:63]
	s_mov_b32 s16, 0x134454ff
	v_fma_f64 v[52:53], v[8:9], v[22:23], -v[10:11]
	v_fma_f64 v[10:11], v[12:13], v[58:59], -v[66:67]
	v_fma_f64 v[22:23], v[8:9], v[20:21], v[64:65]
	v_fma_f64 v[8:9], v[12:13], v[56:57], v[68:69]
	v_fma_f64 v[20:21], v[4:5], v[34:35], -v[6:7]
	v_fma_f64 v[12:13], v[0:1], v[54:55], -v[2:3]
	v_add_f64 v[56:57], v[60:61], v[14:15]
	v_add_f64 v[64:65], v[60:61], -v[14:15]
	s_mov_b32 s17, 0x3fee6f0e
	v_add_f64 v[62:63], v[52:53], v[10:11]
	v_add_f64 v[32:33], v[52:53], -v[10:11]
	v_add_f64 v[4:5], v[22:23], v[8:9]
	v_add_f64 v[0:1], v[22:23], -v[60:61]
	;; [unrolled: 2-line block ×3, first 2 shown]
	v_fma_f64 v[34:35], v[56:57], -0.5, v[16:17]
	v_add_f64 v[66:67], v[20:21], -v[12:13]
	v_add_f64 v[58:59], v[22:23], -v[8:9]
	v_fma_f64 v[62:63], v[62:63], -0.5, v[18:19]
	v_fma_f64 v[54:55], v[4:5], -0.5, v[16:17]
	s_mov_b32 s11, 0xbfee6f0e
	v_fma_f64 v[56:57], v[6:7], -0.5, v[18:19]
	s_mov_b32 s10, s16
	v_add_f64 v[68:69], v[60:61], -v[22:23]
	v_add_f64 v[74:75], v[0:1], v[2:3]
	v_fma_f64 v[0:1], v[32:33], s[16:17], v[34:35]
	v_add_f64 v[2:3], v[14:15], -v[8:9]
	v_fma_f64 v[4:5], v[66:67], s[10:11], v[54:55]
	v_add_f64 v[6:7], v[52:53], -v[20:21]
	v_add_f64 v[70:71], v[10:11], -v[12:13]
	v_fma_f64 v[76:77], v[58:59], s[10:11], v[56:57]
	v_add_f64 v[78:79], v[20:21], -v[52:53]
	v_add_f64 v[81:82], v[12:13], -v[10:11]
	v_fma_f64 v[83:84], v[64:65], s[16:17], v[62:63]
	s_mov_b32 s8, 0x4755a5e
	s_mov_b32 s9, 0x3fe2cf23
	;; [unrolled: 1-line block ×4, first 2 shown]
	v_fma_f64 v[0:1], v[66:67], s[8:9], v[0:1]
	v_add_f64 v[72:73], v[68:69], v[2:3]
	v_fma_f64 v[2:3], v[32:33], s[8:9], v[4:5]
	v_add_f64 v[68:69], v[6:7], v[70:71]
	;; [unrolled: 2-line block ×3, first 2 shown]
	v_fma_f64 v[76:77], v[58:59], s[10:11], v[83:84]
	s_mov_b32 s18, 0x372fe950
	s_mov_b32 s19, 0x3fd3c6ef
	v_fma_f64 v[4:5], v[74:75], s[18:19], v[0:1]
	v_fma_f64 v[0:1], v[72:73], s[18:19], v[2:3]
	;; [unrolled: 1-line block ×3, first 2 shown]
	s_barrier
	v_fma_f64 v[2:3], v[70:71], s[18:19], v[76:77]
	s_and_saveexec_b64 s[10:11], s[2:3]
	s_cbranch_execz .LBB0_25
; %bb.24:
	v_add_f64 v[18:19], v[18:19], v[52:53]
	v_add_f64 v[16:17], v[16:17], v[22:23]
	v_mul_f64 v[76:77], v[32:33], s[16:17]
	v_mul_f64 v[83:84], v[58:59], s[16:17]
	;; [unrolled: 1-line block ×6, first 2 shown]
	v_add_f64 v[18:19], v[18:19], v[20:21]
	v_add_f64 v[16:17], v[16:17], v[60:61]
	v_add_f64 v[20:21], v[34:35], -v[76:77]
	v_add_f64 v[56:57], v[56:57], v[83:84]
	v_mul_f64 v[22:23], v[32:33], s[8:9]
	v_mul_f64 v[58:59], v[58:59], s[8:9]
	v_add_f64 v[62:63], v[62:63], -v[81:82]
	v_add_f64 v[34:35], v[66:67], v[54:55]
	v_add_f64 v[18:19], v[18:19], v[12:13]
	;; [unrolled: 1-line block ×3, first 2 shown]
	v_mul_f64 v[74:75], v[74:75], s[18:19]
	v_mul_f64 v[54:55], v[68:69], s[18:19]
	v_add_f64 v[52:53], v[52:53], v[56:57]
	v_add_f64 v[56:57], v[20:21], -v[78:79]
	v_mul_f64 v[32:33], v[72:73], s[18:19]
	v_mul_f64 v[60:61], v[70:71], s[18:19]
	v_add_f64 v[58:59], v[58:59], v[62:63]
	v_add_f64 v[22:23], v[34:35], -v[22:23]
	v_add_f64 v[20:21], v[18:19], v[10:11]
	v_add_f64 v[18:19], v[14:15], v[8:9]
	;; [unrolled: 1-line block ×4, first 2 shown]
	v_add_lshl_u32 v8, v105, v103, 4
	v_add_f64 v[12:13], v[60:61], v[58:59]
	v_add_f64 v[10:11], v[32:33], v[22:23]
	ds_write_b128 v8, v[18:21]
	ds_write_b128 v8, v[14:17] offset:160
	ds_write_b128 v8, v[10:13] offset:320
	;; [unrolled: 1-line block ×4, first 2 shown]
.LBB0_25:
	s_or_b64 exec, exec, s[10:11]
	s_waitcnt lgkmcnt(0)
	s_barrier
	ds_read_b128 v[8:11], v101 offset:4000
	ds_read_b128 v[12:15], v101 offset:8000
	s_mov_b32 s8, 0xe8584caa
	s_mov_b32 s9, 0xbfebb67a
	s_mov_b32 s11, 0x3febb67a
	s_waitcnt lgkmcnt(1)
	v_mul_f64 v[16:17], v[30:31], v[10:11]
	v_mul_f64 v[18:19], v[30:31], v[8:9]
	s_waitcnt lgkmcnt(0)
	v_mul_f64 v[20:21], v[26:27], v[14:15]
	v_mul_f64 v[22:23], v[26:27], v[12:13]
	s_mov_b32 s10, s8
	v_fma_f64 v[16:17], v[28:29], v[8:9], v[16:17]
	v_fma_f64 v[18:19], v[28:29], v[10:11], -v[18:19]
	v_fma_f64 v[12:13], v[24:25], v[12:13], v[20:21]
	v_fma_f64 v[14:15], v[24:25], v[14:15], -v[22:23]
	ds_read_b128 v[8:11], v101
	s_waitcnt lgkmcnt(0)
	s_barrier
	v_add_f64 v[24:25], v[8:9], v[16:17]
	v_add_f64 v[20:21], v[16:17], v[12:13]
	;; [unrolled: 1-line block ×3, first 2 shown]
	v_add_f64 v[26:27], v[18:19], -v[14:15]
	v_add_f64 v[18:19], v[10:11], v[18:19]
	v_add_f64 v[28:29], v[16:17], -v[12:13]
	v_fma_f64 v[16:17], v[20:21], -0.5, v[8:9]
	v_fma_f64 v[20:21], v[22:23], -0.5, v[10:11]
	v_add_f64 v[8:9], v[24:25], v[12:13]
	v_add_f64 v[10:11], v[18:19], v[14:15]
	v_fma_f64 v[12:13], v[26:27], s[8:9], v[16:17]
	v_fma_f64 v[16:17], v[26:27], s[10:11], v[16:17]
	;; [unrolled: 1-line block ×4, first 2 shown]
	ds_write_b128 v106, v[8:11]
	ds_write_b128 v106, v[12:15] offset:800
	ds_write_b128 v106, v[16:19] offset:1600
	s_waitcnt lgkmcnt(0)
	s_barrier
	s_and_saveexec_b64 s[8:9], s[2:3]
	s_cbranch_execz .LBB0_27
; %bb.26:
	ds_read_b128 v[8:11], v101
	ds_read_b128 v[12:15], v101 offset:2400
	ds_read_b128 v[16:19], v101 offset:4800
	;; [unrolled: 1-line block ×4, first 2 shown]
.LBB0_27:
	s_or_b64 exec, exec, s[8:9]
	s_and_saveexec_b64 s[8:9], s[2:3]
	s_cbranch_execz .LBB0_29
; %bb.28:
	s_waitcnt lgkmcnt(3)
	v_mul_f64 v[20:21], v[38:39], v[12:13]
	s_waitcnt lgkmcnt(0)
	v_mul_f64 v[22:23], v[42:43], v[4:5]
	v_mul_f64 v[24:25], v[50:51], v[16:17]
	;; [unrolled: 1-line block ×5, first 2 shown]
	s_mov_b32 s2, 0x134454ff
	s_mov_b32 s3, 0x3fee6f0e
	v_fma_f64 v[20:21], v[36:37], v[14:15], -v[20:21]
	v_fma_f64 v[22:23], v[40:41], v[6:7], -v[22:23]
	v_mul_f64 v[14:15], v[38:39], v[14:15]
	v_mul_f64 v[6:7], v[42:43], v[6:7]
	v_fma_f64 v[16:17], v[48:49], v[16:17], v[26:27]
	v_fma_f64 v[0:1], v[44:45], v[0:1], v[28:29]
	v_fma_f64 v[18:19], v[48:49], v[18:19], -v[24:25]
	v_fma_f64 v[24:25], v[44:45], v[2:3], -v[30:31]
	s_mov_b32 s19, 0xbfee6f0e
	v_add_f64 v[26:27], v[20:21], v[22:23]
	v_fma_f64 v[12:13], v[36:37], v[12:13], v[14:15]
	v_fma_f64 v[4:5], v[40:41], v[4:5], v[6:7]
	s_mov_b32 s18, s2
	v_add_f64 v[14:15], v[16:17], -v[0:1]
	s_mov_b32 s10, 0x4755a5e
	v_add_f64 v[6:7], v[18:19], v[24:25]
	v_add_f64 v[28:29], v[24:25], -v[22:23]
	v_fma_f64 v[2:3], v[26:27], -0.5, v[10:11]
	v_add_f64 v[26:27], v[18:19], -v[20:21]
	v_add_f64 v[30:31], v[12:13], -v[4:5]
	s_mov_b32 s11, 0xbfe2cf23
	s_mov_b32 s21, 0x3fe2cf23
	;; [unrolled: 1-line block ×3, first 2 shown]
	v_fma_f64 v[6:7], v[6:7], -0.5, v[10:11]
	v_add_f64 v[40:41], v[12:13], v[4:5]
	v_fma_f64 v[32:33], v[14:15], s[2:3], v[2:3]
	v_fma_f64 v[2:3], v[14:15], s[18:19], v[2:3]
	v_add_f64 v[26:27], v[26:27], v[28:29]
	v_add_f64 v[42:43], v[16:17], v[0:1]
	s_mov_b32 s16, 0x372fe950
	s_mov_b32 s17, 0x3fd3c6ef
	v_fma_f64 v[38:39], v[30:31], s[18:19], v[6:7]
	v_add_f64 v[10:11], v[10:11], v[20:21]
	v_fma_f64 v[28:29], v[30:31], s[10:11], v[32:33]
	v_fma_f64 v[32:33], v[30:31], s[20:21], v[2:3]
	;; [unrolled: 1-line block ×3, first 2 shown]
	v_add_f64 v[34:35], v[20:21], -v[18:19]
	v_add_f64 v[20:21], v[20:21], -v[22:23]
	;; [unrolled: 1-line block ×3, first 2 shown]
	v_add_f64 v[10:11], v[10:11], v[18:19]
	v_fma_f64 v[2:3], v[26:27], s[16:17], v[28:29]
	v_fma_f64 v[6:7], v[26:27], s[16:17], v[32:33]
	;; [unrolled: 1-line block ×4, first 2 shown]
	v_add_f64 v[30:31], v[8:9], v[12:13]
	v_fma_f64 v[28:29], v[40:41], -0.5, v[8:9]
	v_fma_f64 v[8:9], v[42:43], -0.5, v[8:9]
	v_add_f64 v[32:33], v[18:19], -v[24:25]
	v_add_f64 v[18:19], v[16:17], -v[12:13]
	;; [unrolled: 1-line block ×4, first 2 shown]
	v_add_f64 v[34:35], v[34:35], v[36:37]
	v_add_f64 v[16:17], v[30:31], v[16:17]
	v_add_f64 v[36:37], v[0:1], -v[4:5]
	v_fma_f64 v[30:31], v[20:21], s[18:19], v[8:9]
	v_fma_f64 v[40:41], v[32:33], s[2:3], v[28:29]
	;; [unrolled: 1-line block ×4, first 2 shown]
	v_add_f64 v[24:25], v[10:11], v[24:25]
	v_add_f64 v[38:39], v[12:13], v[38:39]
	;; [unrolled: 1-line block ×4, first 2 shown]
	v_fma_f64 v[12:13], v[32:33], s[10:11], v[30:31]
	v_fma_f64 v[30:31], v[20:21], s[10:11], v[40:41]
	;; [unrolled: 1-line block ×4, first 2 shown]
	v_add_f64 v[18:19], v[24:25], v[22:23]
	v_fma_f64 v[14:15], v[34:35], s[16:17], v[14:15]
	v_add_f64 v[16:17], v[0:1], v[4:5]
	v_fma_f64 v[10:11], v[34:35], s[16:17], v[26:27]
	v_fma_f64 v[12:13], v[38:39], s[16:17], v[12:13]
	;; [unrolled: 1-line block ×5, first 2 shown]
	ds_write_b128 v101, v[16:19]
	ds_write_b128 v101, v[12:15] offset:2400
	ds_write_b128 v101, v[4:7] offset:4800
	;; [unrolled: 1-line block ×4, first 2 shown]
.LBB0_29:
	s_or_b64 exec, exec, s[8:9]
	s_waitcnt lgkmcnt(0)
	s_barrier
	s_and_b64 exec, exec, s[0:1]
	s_cbranch_execz .LBB0_31
; %bb.30:
	v_mov_b32_e32 v0, s15
	v_add_co_u32_e32 v52, vcc, s14, v101
	v_addc_co_u32_e32 v53, vcc, 0, v0, vcc
	global_load_dwordx4 v[0:3], v101, s[14:15]
	global_load_dwordx4 v[4:7], v101, s[14:15] offset:1200
	global_load_dwordx4 v[8:11], v101, s[14:15] offset:2400
	;; [unrolled: 1-line block ×3, first 2 shown]
	s_movk_i32 s0, 0x1000
	v_add_co_u32_e32 v48, vcc, s0, v52
	v_addc_co_u32_e32 v49, vcc, 0, v53, vcc
	global_load_dwordx4 v[16:19], v[48:49], off offset:704
	global_load_dwordx4 v[20:23], v[48:49], off offset:1904
	ds_read_b128 v[24:27], v101
	ds_read_b128 v[28:31], v101 offset:1200
	ds_read_b128 v[32:35], v101 offset:2400
	;; [unrolled: 1-line block ×5, first 2 shown]
	global_load_dwordx4 v[48:51], v[48:49], off offset:3104
	v_mad_u64_u32 v[66:67], s[2:3], s4, v102, 0
	v_mad_u64_u32 v[64:65], s[0:1], s6, v80, 0
	s_mul_hi_u32 s6, s4, 0x4b0
	s_mul_i32 s2, s4, 0x4b0
	s_movk_i32 s4, 0x2000
	v_add_co_u32_e32 v68, vcc, s4, v52
	v_addc_co_u32_e32 v69, vcc, 0, v53, vcc
	global_load_dwordx4 v[52:55], v[68:69], off offset:208
	s_mul_i32 s3, s5, 0x4b0
	v_mov_b32_e32 v56, v65
	v_mov_b32_e32 v57, v67
	s_add_i32 s3, s6, s3
	v_mad_u64_u32 v[70:71], s[6:7], s7, v80, v[56:57]
	v_mad_u64_u32 v[71:72], s[4:5], s5, v102, v[57:58]
	global_load_dwordx4 v[56:59], v[68:69], off offset:1408
	global_load_dwordx4 v[60:63], v[68:69], off offset:2608
	v_mov_b32_e32 v65, v70
	v_lshlrev_b64 v[64:65], 4, v[64:65]
	v_mov_b32_e32 v67, v71
	v_mov_b32_e32 v73, s13
	v_lshlrev_b64 v[66:67], 4, v[66:67]
	v_add_co_u32_e32 v64, vcc, s12, v64
	v_addc_co_u32_e32 v65, vcc, v73, v65, vcc
	v_add_co_u32_e32 v64, vcc, v64, v66
	v_addc_co_u32_e32 v65, vcc, v65, v67, vcc
	v_mov_b32_e32 v74, s3
	v_add_co_u32_e32 v66, vcc, s2, v64
	v_addc_co_u32_e32 v67, vcc, v65, v74, vcc
	v_mov_b32_e32 v75, s3
	v_add_co_u32_e32 v68, vcc, s2, v66
	v_addc_co_u32_e32 v69, vcc, v67, v75, vcc
	s_mov_b32 s0, 0xc3ece2a5
	s_mov_b32 s1, 0x3f55d867
	v_mov_b32_e32 v82, s3
	s_waitcnt vmcnt(9) lgkmcnt(5)
	v_mul_f64 v[70:71], v[26:27], v[2:3]
	v_mul_f64 v[2:3], v[24:25], v[2:3]
	s_waitcnt vmcnt(8) lgkmcnt(4)
	v_mul_f64 v[72:73], v[30:31], v[6:7]
	v_mul_f64 v[6:7], v[28:29], v[6:7]
	;; [unrolled: 3-line block ×4, first 2 shown]
	v_fma_f64 v[24:25], v[24:25], v[0:1], v[70:71]
	v_fma_f64 v[2:3], v[0:1], v[26:27], -v[2:3]
	v_fma_f64 v[26:27], v[28:29], v[4:5], v[72:73]
	v_fma_f64 v[6:7], v[4:5], v[30:31], -v[6:7]
	;; [unrolled: 2-line block ×3, first 2 shown]
	s_waitcnt vmcnt(5) lgkmcnt(1)
	v_mul_f64 v[78:79], v[42:43], v[18:19]
	v_mul_f64 v[18:19], v[40:41], v[18:19]
	v_fma_f64 v[30:31], v[36:37], v[12:13], v[76:77]
	v_fma_f64 v[14:15], v[12:13], v[38:39], -v[14:15]
	v_mul_f64 v[0:1], v[24:25], s[0:1]
	v_mul_f64 v[2:3], v[2:3], s[0:1]
	;; [unrolled: 1-line block ×6, first 2 shown]
	s_waitcnt vmcnt(4) lgkmcnt(0)
	v_mul_f64 v[80:81], v[46:47], v[22:23]
	v_mul_f64 v[22:23], v[44:45], v[22:23]
	v_fma_f64 v[24:25], v[40:41], v[16:17], v[78:79]
	v_fma_f64 v[16:17], v[16:17], v[42:43], -v[18:19]
	v_mul_f64 v[12:13], v[30:31], s[0:1]
	v_mul_f64 v[14:15], v[14:15], s[0:1]
	global_store_dwordx4 v[64:65], v[0:3], off
	global_store_dwordx4 v[66:67], v[4:7], off
	global_store_dwordx4 v[68:69], v[8:11], off
	ds_read_b128 v[4:7], v101 offset:7200
	ds_read_b128 v[8:11], v101 offset:8400
	v_add_co_u32_e32 v18, vcc, s2, v68
	v_addc_co_u32_e32 v19, vcc, v69, v82, vcc
	global_store_dwordx4 v[18:19], v[12:15], off
	v_mul_f64 v[0:1], v[24:25], s[0:1]
	v_mul_f64 v[2:3], v[16:17], s[0:1]
	v_fma_f64 v[12:13], v[44:45], v[20:21], v[80:81]
	v_fma_f64 v[14:15], v[20:21], v[46:47], -v[22:23]
	s_waitcnt vmcnt(7) lgkmcnt(1)
	v_mul_f64 v[16:17], v[6:7], v[50:51]
	v_mul_f64 v[20:21], v[4:5], v[50:51]
	v_mov_b32_e32 v24, s3
	v_add_co_u32_e32 v18, vcc, s2, v18
	v_addc_co_u32_e32 v19, vcc, v19, v24, vcc
	global_store_dwordx4 v[18:19], v[0:3], off
	v_fma_f64 v[4:5], v[4:5], v[48:49], v[16:17]
	v_mul_f64 v[0:1], v[12:13], s[0:1]
	v_mul_f64 v[2:3], v[14:15], s[0:1]
	v_fma_f64 v[6:7], v[48:49], v[6:7], -v[20:21]
	s_waitcnt vmcnt(7) lgkmcnt(0)
	v_mul_f64 v[12:13], v[10:11], v[54:55]
	v_mul_f64 v[14:15], v[8:9], v[54:55]
	v_mov_b32_e32 v22, s3
	v_add_co_u32_e32 v16, vcc, s2, v18
	v_addc_co_u32_e32 v17, vcc, v19, v22, vcc
	global_store_dwordx4 v[16:17], v[0:3], off
	v_fma_f64 v[12:13], v[8:9], v[52:53], v[12:13]
	v_mul_f64 v[0:1], v[4:5], s[0:1]
	v_mul_f64 v[2:3], v[6:7], s[0:1]
	v_fma_f64 v[14:15], v[52:53], v[10:11], -v[14:15]
	ds_read_b128 v[4:7], v101 offset:9600
	ds_read_b128 v[8:11], v101 offset:10800
	v_mov_b32_e32 v18, s3
	v_add_co_u32_e32 v16, vcc, s2, v16
	v_addc_co_u32_e32 v17, vcc, v17, v18, vcc
	s_waitcnt vmcnt(7) lgkmcnt(1)
	v_mul_f64 v[18:19], v[6:7], v[58:59]
	v_mul_f64 v[20:21], v[4:5], v[58:59]
	s_waitcnt vmcnt(6) lgkmcnt(0)
	v_mul_f64 v[22:23], v[10:11], v[62:63]
	v_mul_f64 v[24:25], v[8:9], v[62:63]
	global_store_dwordx4 v[16:17], v[0:3], off
	v_fma_f64 v[4:5], v[4:5], v[56:57], v[18:19]
	v_mul_f64 v[0:1], v[12:13], s[0:1]
	v_mul_f64 v[2:3], v[14:15], s[0:1]
	v_fma_f64 v[6:7], v[56:57], v[6:7], -v[20:21]
	v_fma_f64 v[8:9], v[8:9], v[60:61], v[22:23]
	v_fma_f64 v[10:11], v[60:61], v[10:11], -v[24:25]
	v_mov_b32_e32 v13, s3
	v_add_co_u32_e32 v12, vcc, s2, v16
	v_addc_co_u32_e32 v13, vcc, v17, v13, vcc
	global_store_dwordx4 v[12:13], v[0:3], off
	v_mov_b32_e32 v14, s3
	v_mul_f64 v[0:1], v[4:5], s[0:1]
	v_mul_f64 v[2:3], v[6:7], s[0:1]
	;; [unrolled: 1-line block ×4, first 2 shown]
	v_add_co_u32_e32 v8, vcc, s2, v12
	v_addc_co_u32_e32 v9, vcc, v13, v14, vcc
	global_store_dwordx4 v[8:9], v[0:3], off
	s_nop 0
	v_mov_b32_e32 v1, s3
	v_add_co_u32_e32 v0, vcc, s2, v8
	v_addc_co_u32_e32 v1, vcc, v9, v1, vcc
	global_store_dwordx4 v[0:1], v[4:7], off
.LBB0_31:
	s_endpgm
	.section	.rodata,"a",@progbits
	.p2align	6, 0x0
	.amdhsa_kernel bluestein_single_back_len750_dim1_dp_op_CI_CI
		.amdhsa_group_segment_fixed_size 12000
		.amdhsa_private_segment_fixed_size 0
		.amdhsa_kernarg_size 104
		.amdhsa_user_sgpr_count 6
		.amdhsa_user_sgpr_private_segment_buffer 1
		.amdhsa_user_sgpr_dispatch_ptr 0
		.amdhsa_user_sgpr_queue_ptr 0
		.amdhsa_user_sgpr_kernarg_segment_ptr 1
		.amdhsa_user_sgpr_dispatch_id 0
		.amdhsa_user_sgpr_flat_scratch_init 0
		.amdhsa_user_sgpr_private_segment_size 0
		.amdhsa_uses_dynamic_stack 0
		.amdhsa_system_sgpr_private_segment_wavefront_offset 0
		.amdhsa_system_sgpr_workgroup_id_x 1
		.amdhsa_system_sgpr_workgroup_id_y 0
		.amdhsa_system_sgpr_workgroup_id_z 0
		.amdhsa_system_sgpr_workgroup_info 0
		.amdhsa_system_vgpr_workitem_id 0
		.amdhsa_next_free_vgpr 119
		.amdhsa_next_free_sgpr 24
		.amdhsa_reserve_vcc 1
		.amdhsa_reserve_flat_scratch 0
		.amdhsa_float_round_mode_32 0
		.amdhsa_float_round_mode_16_64 0
		.amdhsa_float_denorm_mode_32 3
		.amdhsa_float_denorm_mode_16_64 3
		.amdhsa_dx10_clamp 1
		.amdhsa_ieee_mode 1
		.amdhsa_fp16_overflow 0
		.amdhsa_exception_fp_ieee_invalid_op 0
		.amdhsa_exception_fp_denorm_src 0
		.amdhsa_exception_fp_ieee_div_zero 0
		.amdhsa_exception_fp_ieee_overflow 0
		.amdhsa_exception_fp_ieee_underflow 0
		.amdhsa_exception_fp_ieee_inexact 0
		.amdhsa_exception_int_div_zero 0
	.end_amdhsa_kernel
	.text
.Lfunc_end0:
	.size	bluestein_single_back_len750_dim1_dp_op_CI_CI, .Lfunc_end0-bluestein_single_back_len750_dim1_dp_op_CI_CI
                                        ; -- End function
	.section	.AMDGPU.csdata,"",@progbits
; Kernel info:
; codeLenInByte = 9840
; NumSgprs: 28
; NumVgprs: 119
; ScratchSize: 0
; MemoryBound: 0
; FloatMode: 240
; IeeeMode: 1
; LDSByteSize: 12000 bytes/workgroup (compile time only)
; SGPRBlocks: 3
; VGPRBlocks: 29
; NumSGPRsForWavesPerEU: 28
; NumVGPRsForWavesPerEU: 119
; Occupancy: 2
; WaveLimiterHint : 1
; COMPUTE_PGM_RSRC2:SCRATCH_EN: 0
; COMPUTE_PGM_RSRC2:USER_SGPR: 6
; COMPUTE_PGM_RSRC2:TRAP_HANDLER: 0
; COMPUTE_PGM_RSRC2:TGID_X_EN: 1
; COMPUTE_PGM_RSRC2:TGID_Y_EN: 0
; COMPUTE_PGM_RSRC2:TGID_Z_EN: 0
; COMPUTE_PGM_RSRC2:TIDIG_COMP_CNT: 0
	.type	__hip_cuid_d325964aff205bc4,@object ; @__hip_cuid_d325964aff205bc4
	.section	.bss,"aw",@nobits
	.globl	__hip_cuid_d325964aff205bc4
__hip_cuid_d325964aff205bc4:
	.byte	0                               ; 0x0
	.size	__hip_cuid_d325964aff205bc4, 1

	.ident	"AMD clang version 19.0.0git (https://github.com/RadeonOpenCompute/llvm-project roc-6.4.0 25133 c7fe45cf4b819c5991fe208aaa96edf142730f1d)"
	.section	".note.GNU-stack","",@progbits
	.addrsig
	.addrsig_sym __hip_cuid_d325964aff205bc4
	.amdgpu_metadata
---
amdhsa.kernels:
  - .args:
      - .actual_access:  read_only
        .address_space:  global
        .offset:         0
        .size:           8
        .value_kind:     global_buffer
      - .actual_access:  read_only
        .address_space:  global
        .offset:         8
        .size:           8
        .value_kind:     global_buffer
      - .actual_access:  read_only
        .address_space:  global
        .offset:         16
        .size:           8
        .value_kind:     global_buffer
      - .actual_access:  read_only
        .address_space:  global
        .offset:         24
        .size:           8
        .value_kind:     global_buffer
      - .actual_access:  read_only
        .address_space:  global
        .offset:         32
        .size:           8
        .value_kind:     global_buffer
      - .offset:         40
        .size:           8
        .value_kind:     by_value
      - .address_space:  global
        .offset:         48
        .size:           8
        .value_kind:     global_buffer
      - .address_space:  global
        .offset:         56
        .size:           8
        .value_kind:     global_buffer
      - .address_space:  global
        .offset:         64
        .size:           8
        .value_kind:     global_buffer
      - .address_space:  global
        .offset:         72
        .size:           8
        .value_kind:     global_buffer
      - .offset:         80
        .size:           4
        .value_kind:     by_value
      - .address_space:  global
        .offset:         88
        .size:           8
        .value_kind:     global_buffer
      - .address_space:  global
        .offset:         96
        .size:           8
        .value_kind:     global_buffer
    .group_segment_fixed_size: 12000
    .kernarg_segment_align: 8
    .kernarg_segment_size: 104
    .language:       OpenCL C
    .language_version:
      - 2
      - 0
    .max_flat_workgroup_size: 250
    .name:           bluestein_single_back_len750_dim1_dp_op_CI_CI
    .private_segment_fixed_size: 0
    .sgpr_count:     28
    .sgpr_spill_count: 0
    .symbol:         bluestein_single_back_len750_dim1_dp_op_CI_CI.kd
    .uniform_work_group_size: 1
    .uses_dynamic_stack: false
    .vgpr_count:     119
    .vgpr_spill_count: 0
    .wavefront_size: 64
amdhsa.target:   amdgcn-amd-amdhsa--gfx906
amdhsa.version:
  - 1
  - 2
...

	.end_amdgpu_metadata
